;; amdgpu-corpus repo=ROCm/rocFFT kind=compiled arch=gfx906 opt=O3
	.text
	.amdgcn_target "amdgcn-amd-amdhsa--gfx906"
	.amdhsa_code_object_version 6
	.protected	fft_rtc_back_len432_factors_3_16_3_3_wgs_54_tpt_27_halfLds_half_ip_CI_unitstride_sbrr_dirReg ; -- Begin function fft_rtc_back_len432_factors_3_16_3_3_wgs_54_tpt_27_halfLds_half_ip_CI_unitstride_sbrr_dirReg
	.globl	fft_rtc_back_len432_factors_3_16_3_3_wgs_54_tpt_27_halfLds_half_ip_CI_unitstride_sbrr_dirReg
	.p2align	8
	.type	fft_rtc_back_len432_factors_3_16_3_3_wgs_54_tpt_27_halfLds_half_ip_CI_unitstride_sbrr_dirReg,@function
fft_rtc_back_len432_factors_3_16_3_3_wgs_54_tpt_27_halfLds_half_ip_CI_unitstride_sbrr_dirReg: ; @fft_rtc_back_len432_factors_3_16_3_3_wgs_54_tpt_27_halfLds_half_ip_CI_unitstride_sbrr_dirReg
; %bb.0:
	s_load_dwordx2 s[12:13], s[4:5], 0x50
	s_load_dwordx4 s[8:11], s[4:5], 0x0
	s_load_dwordx2 s[2:3], s[4:5], 0x18
	v_mul_u32_u24_e32 v1, 0x97c, v0
	v_lshrrev_b32_e32 v9, 16, v1
	v_mov_b32_e32 v3, 0
	s_waitcnt lgkmcnt(0)
	v_cmp_lt_u64_e64 s[0:1], s[10:11], 2
	v_mov_b32_e32 v1, 0
	v_lshl_add_u32 v5, s6, 1, v9
	v_mov_b32_e32 v6, v3
	s_and_b64 vcc, exec, s[0:1]
	v_mov_b32_e32 v2, 0
	s_cbranch_vccnz .LBB0_8
; %bb.1:
	s_load_dwordx2 s[0:1], s[4:5], 0x10
	s_add_u32 s6, s2, 8
	s_addc_u32 s7, s3, 0
	v_mov_b32_e32 v1, 0
	v_mov_b32_e32 v2, 0
	s_waitcnt lgkmcnt(0)
	s_add_u32 s14, s0, 8
	s_addc_u32 s15, s1, 0
	s_mov_b64 s[16:17], 1
.LBB0_2:                                ; =>This Inner Loop Header: Depth=1
	s_load_dwordx2 s[18:19], s[14:15], 0x0
                                        ; implicit-def: $vgpr7_vgpr8
	s_waitcnt lgkmcnt(0)
	v_or_b32_e32 v4, s19, v6
	v_cmp_ne_u64_e32 vcc, 0, v[3:4]
	s_and_saveexec_b64 s[0:1], vcc
	s_xor_b64 s[20:21], exec, s[0:1]
	s_cbranch_execz .LBB0_4
; %bb.3:                                ;   in Loop: Header=BB0_2 Depth=1
	v_cvt_f32_u32_e32 v4, s18
	v_cvt_f32_u32_e32 v7, s19
	s_sub_u32 s0, 0, s18
	s_subb_u32 s1, 0, s19
	v_mac_f32_e32 v4, 0x4f800000, v7
	v_rcp_f32_e32 v4, v4
	v_mul_f32_e32 v4, 0x5f7ffffc, v4
	v_mul_f32_e32 v7, 0x2f800000, v4
	v_trunc_f32_e32 v7, v7
	v_mac_f32_e32 v4, 0xcf800000, v7
	v_cvt_u32_f32_e32 v7, v7
	v_cvt_u32_f32_e32 v4, v4
	v_mul_lo_u32 v8, s0, v7
	v_mul_hi_u32 v10, s0, v4
	v_mul_lo_u32 v12, s1, v4
	v_mul_lo_u32 v11, s0, v4
	v_add_u32_e32 v8, v10, v8
	v_add_u32_e32 v8, v8, v12
	v_mul_hi_u32 v10, v4, v11
	v_mul_lo_u32 v12, v4, v8
	v_mul_hi_u32 v14, v4, v8
	v_mul_hi_u32 v13, v7, v11
	v_mul_lo_u32 v11, v7, v11
	v_mul_hi_u32 v15, v7, v8
	v_add_co_u32_e32 v10, vcc, v10, v12
	v_addc_co_u32_e32 v12, vcc, 0, v14, vcc
	v_mul_lo_u32 v8, v7, v8
	v_add_co_u32_e32 v10, vcc, v10, v11
	v_addc_co_u32_e32 v10, vcc, v12, v13, vcc
	v_addc_co_u32_e32 v11, vcc, 0, v15, vcc
	v_add_co_u32_e32 v8, vcc, v10, v8
	v_addc_co_u32_e32 v10, vcc, 0, v11, vcc
	v_add_co_u32_e32 v4, vcc, v4, v8
	v_addc_co_u32_e32 v7, vcc, v7, v10, vcc
	v_mul_lo_u32 v8, s0, v7
	v_mul_hi_u32 v10, s0, v4
	v_mul_lo_u32 v11, s1, v4
	v_mul_lo_u32 v12, s0, v4
	v_add_u32_e32 v8, v10, v8
	v_add_u32_e32 v8, v8, v11
	v_mul_lo_u32 v13, v4, v8
	v_mul_hi_u32 v14, v4, v12
	v_mul_hi_u32 v15, v4, v8
	;; [unrolled: 1-line block ×3, first 2 shown]
	v_mul_lo_u32 v12, v7, v12
	v_mul_hi_u32 v10, v7, v8
	v_add_co_u32_e32 v13, vcc, v14, v13
	v_addc_co_u32_e32 v14, vcc, 0, v15, vcc
	v_mul_lo_u32 v8, v7, v8
	v_add_co_u32_e32 v12, vcc, v13, v12
	v_addc_co_u32_e32 v11, vcc, v14, v11, vcc
	v_addc_co_u32_e32 v10, vcc, 0, v10, vcc
	v_add_co_u32_e32 v8, vcc, v11, v8
	v_addc_co_u32_e32 v10, vcc, 0, v10, vcc
	v_add_co_u32_e32 v4, vcc, v4, v8
	v_addc_co_u32_e32 v10, vcc, v7, v10, vcc
	v_mad_u64_u32 v[7:8], s[0:1], v5, v10, 0
	v_mul_hi_u32 v11, v5, v4
	v_add_co_u32_e32 v12, vcc, v11, v7
	v_addc_co_u32_e32 v13, vcc, 0, v8, vcc
	v_mad_u64_u32 v[7:8], s[0:1], v6, v4, 0
	v_mad_u64_u32 v[10:11], s[0:1], v6, v10, 0
	v_add_co_u32_e32 v4, vcc, v12, v7
	v_addc_co_u32_e32 v4, vcc, v13, v8, vcc
	v_addc_co_u32_e32 v7, vcc, 0, v11, vcc
	v_add_co_u32_e32 v4, vcc, v4, v10
	v_addc_co_u32_e32 v10, vcc, 0, v7, vcc
	v_mul_lo_u32 v11, s19, v4
	v_mul_lo_u32 v12, s18, v10
	v_mad_u64_u32 v[7:8], s[0:1], s18, v4, 0
	v_add3_u32 v8, v8, v12, v11
	v_sub_u32_e32 v11, v6, v8
	v_mov_b32_e32 v12, s19
	v_sub_co_u32_e32 v7, vcc, v5, v7
	v_subb_co_u32_e64 v11, s[0:1], v11, v12, vcc
	v_subrev_co_u32_e64 v12, s[0:1], s18, v7
	v_subbrev_co_u32_e64 v11, s[0:1], 0, v11, s[0:1]
	v_cmp_le_u32_e64 s[0:1], s19, v11
	v_cndmask_b32_e64 v13, 0, -1, s[0:1]
	v_cmp_le_u32_e64 s[0:1], s18, v12
	v_cndmask_b32_e64 v12, 0, -1, s[0:1]
	v_cmp_eq_u32_e64 s[0:1], s19, v11
	v_cndmask_b32_e64 v11, v13, v12, s[0:1]
	v_add_co_u32_e64 v12, s[0:1], 2, v4
	v_addc_co_u32_e64 v13, s[0:1], 0, v10, s[0:1]
	v_add_co_u32_e64 v14, s[0:1], 1, v4
	v_addc_co_u32_e64 v15, s[0:1], 0, v10, s[0:1]
	v_subb_co_u32_e32 v8, vcc, v6, v8, vcc
	v_cmp_ne_u32_e64 s[0:1], 0, v11
	v_cmp_le_u32_e32 vcc, s19, v8
	v_cndmask_b32_e64 v11, v15, v13, s[0:1]
	v_cndmask_b32_e64 v13, 0, -1, vcc
	v_cmp_le_u32_e32 vcc, s18, v7
	v_cndmask_b32_e64 v7, 0, -1, vcc
	v_cmp_eq_u32_e32 vcc, s19, v8
	v_cndmask_b32_e32 v7, v13, v7, vcc
	v_cmp_ne_u32_e32 vcc, 0, v7
	v_cndmask_b32_e64 v7, v14, v12, s[0:1]
	v_cndmask_b32_e32 v8, v10, v11, vcc
	v_cndmask_b32_e32 v7, v4, v7, vcc
.LBB0_4:                                ;   in Loop: Header=BB0_2 Depth=1
	s_andn2_saveexec_b64 s[0:1], s[20:21]
	s_cbranch_execz .LBB0_6
; %bb.5:                                ;   in Loop: Header=BB0_2 Depth=1
	v_cvt_f32_u32_e32 v4, s18
	s_sub_i32 s20, 0, s18
	v_rcp_iflag_f32_e32 v4, v4
	v_mul_f32_e32 v4, 0x4f7ffffe, v4
	v_cvt_u32_f32_e32 v4, v4
	v_mul_lo_u32 v7, s20, v4
	v_mul_hi_u32 v7, v4, v7
	v_add_u32_e32 v4, v4, v7
	v_mul_hi_u32 v4, v5, v4
	v_mul_lo_u32 v7, v4, s18
	v_add_u32_e32 v8, 1, v4
	v_sub_u32_e32 v7, v5, v7
	v_subrev_u32_e32 v10, s18, v7
	v_cmp_le_u32_e32 vcc, s18, v7
	v_cndmask_b32_e32 v7, v7, v10, vcc
	v_cndmask_b32_e32 v4, v4, v8, vcc
	v_add_u32_e32 v8, 1, v4
	v_cmp_le_u32_e32 vcc, s18, v7
	v_cndmask_b32_e32 v7, v4, v8, vcc
	v_mov_b32_e32 v8, v3
.LBB0_6:                                ;   in Loop: Header=BB0_2 Depth=1
	s_or_b64 exec, exec, s[0:1]
	v_mul_lo_u32 v4, v8, s18
	v_mul_lo_u32 v12, v7, s19
	v_mad_u64_u32 v[10:11], s[0:1], v7, s18, 0
	s_load_dwordx2 s[0:1], s[6:7], 0x0
	s_add_u32 s16, s16, 1
	v_add3_u32 v4, v11, v12, v4
	v_sub_co_u32_e32 v5, vcc, v5, v10
	v_subb_co_u32_e32 v4, vcc, v6, v4, vcc
	s_waitcnt lgkmcnt(0)
	v_mul_lo_u32 v4, s0, v4
	v_mul_lo_u32 v6, s1, v5
	v_mad_u64_u32 v[1:2], s[0:1], s0, v5, v[1:2]
	s_addc_u32 s17, s17, 0
	s_add_u32 s6, s6, 8
	v_add3_u32 v2, v6, v2, v4
	v_mov_b32_e32 v4, s10
	v_mov_b32_e32 v5, s11
	s_addc_u32 s7, s7, 0
	v_cmp_ge_u64_e32 vcc, s[16:17], v[4:5]
	s_add_u32 s14, s14, 8
	s_addc_u32 s15, s15, 0
	s_cbranch_vccnz .LBB0_9
; %bb.7:                                ;   in Loop: Header=BB0_2 Depth=1
	v_mov_b32_e32 v5, v7
	v_mov_b32_e32 v6, v8
	s_branch .LBB0_2
.LBB0_8:
	v_mov_b32_e32 v8, v6
	v_mov_b32_e32 v7, v5
.LBB0_9:
	s_lshl_b64 s[0:1], s[10:11], 3
	s_add_u32 s0, s2, s0
	s_addc_u32 s1, s3, s1
	s_load_dwordx2 s[2:3], s[0:1], 0x0
	s_load_dwordx2 s[6:7], s[4:5], 0x20
                                        ; implicit-def: $vgpr12
                                        ; implicit-def: $vgpr30
                                        ; implicit-def: $vgpr21
                                        ; implicit-def: $vgpr28
                                        ; implicit-def: $vgpr24
                                        ; implicit-def: $vgpr31
                                        ; implicit-def: $vgpr33
                                        ; implicit-def: $vgpr15
                                        ; implicit-def: $vgpr32
                                        ; implicit-def: $vgpr25
                                        ; implicit-def: $vgpr34
                                        ; implicit-def: $vgpr10
                                        ; implicit-def: $vgpr36
                                        ; implicit-def: $vgpr16
                                        ; implicit-def: $vgpr35
                                        ; implicit-def: $vgpr26
                                        ; implicit-def: $vgpr37
                                        ; implicit-def: $vgpr11
                                        ; implicit-def: $vgpr39
                                        ; implicit-def: $vgpr18
                                        ; implicit-def: $vgpr38
                                        ; implicit-def: $vgpr27
                                        ; implicit-def: $vgpr40
                                        ; implicit-def: $vgpr19
                                        ; implicit-def: $vgpr41
                                        ; implicit-def: $vgpr20
                                        ; implicit-def: $vgpr29
                                        ; implicit-def: $vgpr17
                                        ; implicit-def: $vgpr23
                                        ; implicit-def: $vgpr22
	s_waitcnt lgkmcnt(0)
	v_mad_u64_u32 v[1:2], s[0:1], s2, v7, v[1:2]
	v_mul_lo_u32 v3, s2, v8
	v_mul_lo_u32 v4, s3, v7
	s_mov_b32 s0, 0x97b425f
	v_mul_hi_u32 v5, v0, s0
	v_cmp_gt_u64_e32 vcc, s[6:7], v[7:8]
	v_add3_u32 v2, v4, v2, v3
	v_lshlrev_b64 v[6:7], 2, v[1:2]
	v_mul_u32_u24_e32 v3, 27, v5
	v_sub_u32_e32 v4, v0, v3
                                        ; implicit-def: $vgpr0
                                        ; implicit-def: $vgpr5
                                        ; implicit-def: $vgpr1
                                        ; implicit-def: $vgpr8
                                        ; implicit-def: $vgpr2
                                        ; implicit-def: $vgpr3
	s_and_saveexec_b64 s[2:3], vcc
	s_cbranch_execz .LBB0_13
; %bb.10:
	v_mov_b32_e32 v5, 0
	v_mov_b32_e32 v0, s13
	v_add_co_u32_e64 v2, s[0:1], s12, v6
	v_addc_co_u32_e64 v3, s[0:1], v0, v7, s[0:1]
	v_lshlrev_b64 v[0:1], 2, v[4:5]
                                        ; implicit-def: $vgpr22
                                        ; implicit-def: $vgpr23
                                        ; implicit-def: $vgpr17
                                        ; implicit-def: $vgpr29
	v_add_co_u32_e64 v0, s[0:1], v2, v0
	v_addc_co_u32_e64 v1, s[0:1], v3, v1, s[0:1]
	global_load_dword v8, v[0:1], off offset:684
	global_load_dword v10, v[0:1], off offset:792
	global_load_dword v5, v[0:1], off
	global_load_dword v24, v[0:1], off offset:108
	global_load_dword v25, v[0:1], off offset:216
	;; [unrolled: 1-line block ×12, first 2 shown]
	v_cmp_gt_u32_e64 s[0:1], 9, v4
                                        ; implicit-def: $vgpr3
                                        ; implicit-def: $vgpr2
	s_and_saveexec_b64 s[4:5], s[0:1]
	s_cbranch_execz .LBB0_12
; %bb.11:
	global_load_dword v29, v[0:1], off offset:540
	global_load_dword v22, v[0:1], off offset:1116
	;; [unrolled: 1-line block ×3, first 2 shown]
	s_waitcnt vmcnt(2)
	v_lshrrev_b32_e32 v2, 16, v29
	s_waitcnt vmcnt(1)
	v_lshrrev_b32_e32 v3, 16, v22
	;; [unrolled: 2-line block ×3, first 2 shown]
.LBB0_12:
	s_or_b64 exec, exec, s[4:5]
	s_waitcnt vmcnt(12)
	v_lshrrev_b32_e32 v0, 16, v5
	s_waitcnt vmcnt(7)
	v_lshrrev_b32_e32 v1, 16, v12
	;; [unrolled: 2-line block ×3, first 2 shown]
	v_lshrrev_b32_e32 v28, 16, v24
	v_lshrrev_b32_e32 v31, 16, v8
	;; [unrolled: 1-line block ×10, first 2 shown]
	s_waitcnt vmcnt(0)
	v_lshrrev_b32_e32 v40, 16, v19
	v_lshrrev_b32_e32 v41, 16, v20
.LBB0_13:
	s_or_b64 exec, exec, s[2:3]
	v_add_f16_e32 v13, v12, v21
	v_fma_f16 v13, v13, -0.5, v5
	v_sub_f16_e32 v14, v1, v30
	s_mov_b32 s4, 0xbaee
	s_movk_i32 s5, 0x3aee
	v_fma_f16 v43, v14, s4, v13
	v_fma_f16 v44, v14, s5, v13
	v_add_f16_e32 v13, v8, v15
	v_fma_f16 v13, v13, -0.5, v24
	v_sub_f16_e32 v14, v31, v33
	v_fma_f16 v45, v14, s4, v13
	v_fma_f16 v46, v14, s5, v13
	v_add_f16_e32 v13, v10, v16
	v_fma_f16 v13, v13, -0.5, v25
	v_sub_f16_e32 v14, v34, v36
	;; [unrolled: 5-line block ×5, first 2 shown]
	v_and_b32_e32 v9, 1, v9
	v_fma_f16 v14, v42, s4, v13
	v_fma_f16 v13, v42, s5, v13
	v_mov_b32_e32 v42, 0x1b0
	v_cmp_eq_u32_e64 s[0:1], 1, v9
	v_cndmask_b32_e64 v9, 0, v42, s[0:1]
	v_add_f16_e32 v5, v5, v12
	v_add_f16_e32 v53, v5, v21
	v_mad_u32_u24 v54, v4, 6, 0
	v_lshlrev_b32_e32 v5, 1, v9
	v_add_f16_e32 v24, v24, v8
	v_add_u32_e32 v42, v54, v5
	v_add_f16_e32 v24, v24, v15
	ds_write_b16 v42, v53
	ds_write_b16 v42, v43 offset:2
	ds_write_b16 v42, v44 offset:4
	;; [unrolled: 1-line block ×5, first 2 shown]
	v_add_f16_e32 v24, v25, v10
	v_add_f16_e32 v24, v24, v16
	ds_write_b16 v42, v24 offset:324
	ds_write_b16 v42, v47 offset:326
	;; [unrolled: 1-line block ×3, first 2 shown]
	v_add_f16_e32 v24, v26, v11
	v_add_f16_e32 v24, v24, v18
	ds_write_b16 v42, v24 offset:486
	ds_write_b16 v42, v49 offset:488
	;; [unrolled: 1-line block ×3, first 2 shown]
	v_add_f16_e32 v24, v27, v19
	v_add_f16_e32 v25, v24, v20
	v_add_u32_e32 v24, 0x288, v54
	v_add_u32_e32 v43, v24, v5
	;; [unrolled: 1-line block ×4, first 2 shown]
	v_cmp_gt_u32_e64 s[0:1], 9, v4
	v_add_u32_e32 v44, 0x1e6, v42
	ds_write_b16 v43, v25
	ds_write_b16 v43, v51 offset:2
	ds_write_b16 v43, v52 offset:4
	s_and_saveexec_b64 s[2:3], s[0:1]
	s_cbranch_execz .LBB0_15
; %bb.14:
	v_add_f16_e32 v25, v29, v22
	v_add_f16_e32 v25, v23, v25
	v_lshl_add_u32 v9, v9, 1, v24
	ds_write_b16 v9, v25 offset:162
	ds_write_b16 v9, v14 offset:164
	;; [unrolled: 1-line block ×3, first 2 shown]
.LBB0_15:
	s_or_b64 exec, exec, s[2:3]
	v_add_f16_e32 v9, v0, v1
	v_add_f16_e32 v1, v1, v30
	v_fma_f16 v0, v1, -0.5, v0
	v_sub_f16_e32 v1, v12, v21
	v_fma_f16 v48, v1, s5, v0
	v_fma_f16 v49, v1, s4, v0
	v_add_f16_e32 v0, v28, v31
	v_add_f16_e32 v50, v0, v33
	v_add_f16_e32 v0, v31, v33
	v_fma_f16 v0, v0, -0.5, v28
	v_sub_f16_e32 v1, v8, v15
	v_fma_f16 v33, v1, s5, v0
	v_fma_f16 v51, v1, s4, v0
	v_add_f16_e32 v0, v32, v34
	;; [unrolled: 7-line block ×5, first 2 shown]
	v_fma_f16 v0, v0, -0.5, v2
	v_sub_f16_e32 v1, v22, v23
	v_lshlrev_b32_e32 v8, 1, v4
	v_fma_f16 v16, v1, s5, v0
	v_fma_f16 v15, v1, s4, v0
	v_add3_u32 v12, 0, v5, v8
	v_add_u32_e32 v0, 0, v8
	v_add_f16_e32 v47, v9, v30
	s_waitcnt lgkmcnt(0)
	; wave barrier
	s_waitcnt lgkmcnt(0)
	v_add_u32_e32 v11, v0, v5
	ds_read_u16 v20, v12
	ds_read_u16 v31, v11 offset:54
	ds_read_u16 v19, v11 offset:108
	;; [unrolled: 1-line block ×15, first 2 shown]
	v_add_u32_e32 v10, 0x87, v4
	s_waitcnt lgkmcnt(0)
	; wave barrier
	s_waitcnt lgkmcnt(0)
	ds_write_b16 v42, v47
	ds_write_b16 v42, v48 offset:2
	ds_write_b16 v42, v49 offset:4
	ds_write_b16 v46, v50
	ds_write_b16 v46, v33 offset:2
	ds_write_b16 v46, v51 offset:4
	;; [unrolled: 3-line block ×5, first 2 shown]
	s_and_saveexec_b64 s[2:3], s[0:1]
	s_cbranch_execz .LBB0_17
; %bb.16:
	v_add_f16_e32 v2, v2, v3
	v_mul_u32_u24_e32 v3, 6, v10
	v_add_f16_e32 v2, v17, v2
	v_add3_u32 v3, 0, v3, v5
	ds_write_b16 v3, v2
	ds_write_b16 v3, v16 offset:2
	ds_write_b16 v3, v15 offset:4
.LBB0_17:
	s_or_b64 exec, exec, s[2:3]
	s_movk_i32 s2, 0xab
	v_mul_lo_u16_sdwa v32, v4, s2 dst_sel:DWORD dst_unused:UNUSED_PAD src0_sel:BYTE_0 src1_sel:DWORD
	v_lshrrev_b16_e32 v55, 9, v32
	v_mul_lo_u16_e32 v32, 3, v55
	v_sub_u16_e32 v58, v4, v32
	v_mov_b32_e32 v32, 15
	v_mul_u32_u24_sdwa v32, v58, v32 dst_sel:DWORD dst_unused:UNUSED_PAD src0_sel:BYTE_0 src1_sel:DWORD
	v_lshlrev_b32_e32 v48, 2, v32
	s_waitcnt lgkmcnt(0)
	; wave barrier
	s_waitcnt lgkmcnt(0)
	ds_read_u16 v17, v12
	ds_read_u16 v2, v11 offset:54
	ds_read_u16 v3, v11 offset:108
	;; [unrolled: 1-line block ×15, first 2 shown]
	global_load_dwordx4 v[32:35], v48, s[8:9]
	s_movk_i32 s2, 0x39a8
	s_mov_b32 s3, 0xb9a8
	s_mov_b32 s4, 0xbb64
	s_movk_i32 s5, 0x361f
	s_mov_b32 s6, 0xb61f
	s_movk_i32 s7, 0x3b64
	v_mul_u32_u24_e32 v55, 48, v55
	v_or_b32_sdwa v55, v55, v58 dst_sel:DWORD dst_unused:UNUSED_PAD src0_sel:DWORD src1_sel:BYTE_0
	v_lshlrev_b32_e32 v55, 1, v55
	v_add3_u32 v55, 0, v55, v5
	s_waitcnt vmcnt(0) lgkmcnt(14)
	v_mul_f16_sdwa v49, v2, v32 dst_sel:DWORD dst_unused:UNUSED_PAD src0_sel:DWORD src1_sel:WORD_1
	v_fma_f16 v49, v31, v32, v49
	v_mul_f16_sdwa v31, v31, v32 dst_sel:DWORD dst_unused:UNUSED_PAD src0_sel:DWORD src1_sel:WORD_1
	v_fma_f16 v32, v2, v32, -v31
	s_waitcnt lgkmcnt(13)
	v_mul_f16_sdwa v2, v3, v33 dst_sel:DWORD dst_unused:UNUSED_PAD src0_sel:DWORD src1_sel:WORD_1
	v_fma_f16 v50, v19, v33, v2
	v_mul_f16_sdwa v2, v19, v33 dst_sel:DWORD dst_unused:UNUSED_PAD src0_sel:DWORD src1_sel:WORD_1
	v_fma_f16 v33, v3, v33, -v2
	s_waitcnt lgkmcnt(12)
	;; [unrolled: 5-line block ×3, first 2 shown]
	v_mul_f16_sdwa v1, v37, v35 dst_sel:DWORD dst_unused:UNUSED_PAD src0_sel:DWORD src1_sel:WORD_1
	v_fma_f16 v36, v0, v35, v1
	v_mul_f16_sdwa v0, v0, v35 dst_sel:DWORD dst_unused:UNUSED_PAD src0_sel:DWORD src1_sel:WORD_1
	v_fma_f16 v19, v37, v35, -v0
	global_load_dwordx4 v[0:3], v48, s[8:9] offset:16
	s_waitcnt vmcnt(0) lgkmcnt(10)
	v_mul_f16_sdwa v31, v38, v0 dst_sel:DWORD dst_unused:UNUSED_PAD src0_sel:DWORD src1_sel:WORD_1
	v_fma_f16 v35, v30, v0, v31
	v_mul_f16_sdwa v30, v30, v0 dst_sel:DWORD dst_unused:UNUSED_PAD src0_sel:DWORD src1_sel:WORD_1
	v_fma_f16 v37, v38, v0, -v30
	s_waitcnt lgkmcnt(9)
	v_mul_f16_sdwa v0, v39, v1 dst_sel:DWORD dst_unused:UNUSED_PAD src0_sel:DWORD src1_sel:WORD_1
	v_fma_f16 v38, v29, v1, v0
	v_mul_f16_sdwa v0, v29, v1 dst_sel:DWORD dst_unused:UNUSED_PAD src0_sel:DWORD src1_sel:WORD_1
	v_fma_f16 v39, v39, v1, -v0
	s_waitcnt lgkmcnt(8)
	v_mul_f16_sdwa v0, v40, v2 dst_sel:DWORD dst_unused:UNUSED_PAD src0_sel:DWORD src1_sel:WORD_1
	v_fma_f16 v52, v28, v2, v0
	v_mul_f16_sdwa v0, v28, v2 dst_sel:DWORD dst_unused:UNUSED_PAD src0_sel:DWORD src1_sel:WORD_1
	global_load_dwordx4 v[28:31], v48, s[8:9] offset:32
	v_fma_f16 v40, v40, v2, -v0
	s_waitcnt lgkmcnt(7)
	v_mul_f16_sdwa v0, v18, v3 dst_sel:DWORD dst_unused:UNUSED_PAD src0_sel:DWORD src1_sel:WORD_1
	v_fma_f16 v53, v9, v3, v0
	s_waitcnt vmcnt(0) lgkmcnt(6)
	v_mul_f16_sdwa v0, v41, v28 dst_sel:DWORD dst_unused:UNUSED_PAD src0_sel:DWORD src1_sel:WORD_1
	v_fma_f16 v54, v27, v28, v0
	v_mul_f16_sdwa v0, v27, v28 dst_sel:DWORD dst_unused:UNUSED_PAD src0_sel:DWORD src1_sel:WORD_1
	v_fma_f16 v27, v41, v28, -v0
	s_waitcnt lgkmcnt(5)
	v_mul_f16_sdwa v0, v42, v29 dst_sel:DWORD dst_unused:UNUSED_PAD src0_sel:DWORD src1_sel:WORD_1
	v_fma_f16 v28, v26, v29, v0
	v_mul_f16_sdwa v0, v26, v29 dst_sel:DWORD dst_unused:UNUSED_PAD src0_sel:DWORD src1_sel:WORD_1
	v_fma_f16 v26, v42, v29, -v0
	s_waitcnt lgkmcnt(4)
	;; [unrolled: 5-line block ×3, first 2 shown]
	v_mul_f16_sdwa v0, v44, v31 dst_sel:DWORD dst_unused:UNUSED_PAD src0_sel:DWORD src1_sel:WORD_1
	v_fma_f16 v30, v24, v31, v0
	v_mul_f16_sdwa v0, v24, v31 dst_sel:DWORD dst_unused:UNUSED_PAD src0_sel:DWORD src1_sel:WORD_1
	v_fma_f16 v24, v44, v31, -v0
	global_load_dwordx3 v[0:2], v48, s[8:9] offset:48
	v_sub_f16_e32 v26, v33, v26
	v_sub_f16_e32 v29, v51, v29
	;; [unrolled: 1-line block ×6, first 2 shown]
	v_fma_f16 v32, v32, 2.0, -v27
	v_fma_f16 v34, v34, 2.0, -v25
	;; [unrolled: 1-line block ×3, first 2 shown]
	s_waitcnt lgkmcnt(0)
	; wave barrier
	s_waitcnt vmcnt(0) lgkmcnt(0)
	v_mul_f16_sdwa v31, v45, v0 dst_sel:DWORD dst_unused:UNUSED_PAD src0_sel:DWORD src1_sel:WORD_1
	v_fma_f16 v31, v23, v0, v31
	v_mul_f16_sdwa v23, v23, v0 dst_sel:DWORD dst_unused:UNUSED_PAD src0_sel:DWORD src1_sel:WORD_1
	v_fma_f16 v23, v45, v0, -v23
	v_mul_f16_sdwa v0, v46, v1 dst_sel:DWORD dst_unused:UNUSED_PAD src0_sel:DWORD src1_sel:WORD_1
	v_fma_f16 v41, v22, v1, v0
	v_mul_f16_sdwa v0, v22, v1 dst_sel:DWORD dst_unused:UNUSED_PAD src0_sel:DWORD src1_sel:WORD_1
	v_fma_f16 v22, v46, v1, -v0
	;; [unrolled: 4-line block ×3, first 2 shown]
	v_sub_f16_e32 v0, v36, v30
	v_fma_f16 v2, v33, 2.0, -v26
	v_sub_f16_e32 v33, v38, v41
	v_sub_f16_e32 v22, v39, v22
	;; [unrolled: 1-line block ×4, first 2 shown]
	v_fma_f16 v24, v36, 2.0, -v0
	v_fma_f16 v36, v38, 2.0, -v33
	;; [unrolled: 1-line block ×3, first 2 shown]
	v_sub_f16_e32 v39, v49, v54
	v_sub_f16_e32 v31, v35, v31
	;; [unrolled: 1-line block ×3, first 2 shown]
	v_fma_f16 v45, v51, 2.0, -v29
	v_sub_f16_e32 v46, v40, v21
	v_fma_f16 v47, v52, 2.0, -v42
	v_fma_f16 v30, v50, 2.0, -v28
	;; [unrolled: 1-line block ×6, first 2 shown]
	v_sub_f16_e32 v51, v45, v47
	v_add_f16_e32 v48, v43, v1
	v_sub_f16_e32 v21, v30, v36
	v_add_f16_e32 v36, v28, v22
	v_sub_f16_e32 v35, v41, v35
	v_sub_f16_e32 v37, v32, v37
	;; [unrolled: 1-line block ×3, first 2 shown]
	v_fma_f16 v40, v45, 2.0, -v51
	v_add_f16_e32 v45, v29, v46
	v_sub_f16_e32 v23, v2, v38
	v_sub_f16_e32 v33, v26, v33
	v_fma_f16 v38, v41, 2.0, -v35
	v_fma_f16 v22, v32, 2.0, -v37
	v_add_f16_e32 v32, v39, v44
	v_fma_f16 v41, v29, 2.0, -v45
	v_fma_f16 v29, v36, s2, v48
	v_fma_f16 v26, v26, 2.0, -v33
	v_fma_f16 v39, v39, 2.0, -v32
	;; [unrolled: 1-line block ×3, first 2 shown]
	v_sub_f16_e32 v53, v25, v42
	v_mul_f16_e32 v47, 0x39a8, v33
	v_fma_f16 v33, v33, s2, v29
	v_sub_f16_e32 v29, v38, v40
	v_sub_f16_e32 v24, v20, v24
	v_fma_f16 v43, v43, 2.0, -v48
	v_fma_f16 v28, v28, 2.0, -v36
	;; [unrolled: 1-line block ×3, first 2 shown]
	v_mul_f16_e32 v46, 0x39a8, v36
	v_fma_f16 v36, v48, 2.0, -v33
	v_sub_f16_e32 v48, v22, v34
	v_fma_f16 v34, v38, 2.0, -v29
	v_fma_f16 v38, v41, s3, v39
	v_fma_f16 v20, v20, 2.0, -v24
	v_fma_f16 v30, v30, 2.0, -v21
	v_sub_f16_e32 v31, v27, v31
	v_mul_f16_e32 v42, 0x39a8, v28
	v_fma_f16 v28, v28, s3, v43
	v_fma_f16 v40, v25, s2, v38
	v_fma_f16 v27, v27, 2.0, -v31
	v_sub_f16_e32 v30, v20, v30
	v_mul_f16_e32 v44, 0x39a8, v26
	v_fma_f16 v26, v26, s2, v28
	v_fma_f16 v49, v39, 2.0, -v40
	v_fma_f16 v39, v53, s2, v31
	v_fma_f16 v20, v20, 2.0, -v30
	v_fma_f16 v28, v43, 2.0, -v26
	v_fma_f16 v43, v25, s3, v27
	v_fma_f16 v38, v45, s2, v32
	;; [unrolled: 1-line block ×3, first 2 shown]
	v_add_f16_e32 v59, v24, v23
	v_fma_f16 v41, v41, s3, v43
	v_add_f16_e32 v25, v35, v52
	v_fma_f16 v43, v53, s2, v38
	v_fma_f16 v52, v31, 2.0, -v45
	v_sub_f16_e32 v31, v20, v34
	v_fma_f16 v24, v24, 2.0, -v59
	v_fma_f16 v50, v27, 2.0, -v41
	v_sub_f16_e32 v27, v37, v51
	v_fma_f16 v35, v35, 2.0, -v25
	v_fma_f16 v51, v32, 2.0, -v43
	;; [unrolled: 1-line block ×3, first 2 shown]
	v_fma_f16 v20, v49, s4, v28
	v_fma_f16 v37, v37, 2.0, -v27
	v_fma_f16 v34, v50, s5, v20
	v_fma_f16 v20, v35, s3, v24
	v_mul_f16_e32 v53, 0x39a8, v35
	v_fma_f16 v35, v37, s2, v20
	v_fma_f16 v20, v51, s6, v36
	v_mul_f16_e32 v54, 0x39a8, v37
	v_fma_f16 v37, v52, s7, v20
	v_fma_f16 v20, v40, s5, v26
	;; [unrolled: 1-line block ×4, first 2 shown]
	v_mul_f16_e32 v56, 0x39a8, v25
	v_fma_f16 v25, v27, s2, v20
	v_fma_f16 v20, v43, s7, v33
	v_add_f16_e32 v38, v30, v48
	v_fma_f16 v20, v45, s5, v20
	v_fma_f16 v28, v28, 2.0, -v34
	v_fma_f16 v24, v24, 2.0, -v35
	;; [unrolled: 1-line block ×5, first 2 shown]
	v_mul_f16_e32 v57, 0x39a8, v27
	v_fma_f16 v27, v59, 2.0, -v25
	v_fma_f16 v33, v33, 2.0, -v20
	ds_write_b16 v55, v32
	ds_write_b16 v55, v28 offset:6
	ds_write_b16 v55, v24 offset:12
	;; [unrolled: 1-line block ×15, first 2 shown]
	s_waitcnt lgkmcnt(0)
	; wave barrier
	s_waitcnt lgkmcnt(0)
	ds_read_u16 v26, v12
	ds_read_u16 v39, v11 offset:288
	ds_read_u16 v38, v11 offset:576
	;; [unrolled: 1-line block ×14, first 2 shown]
	s_and_saveexec_b64 s[2:3], s[0:1]
	s_cbranch_execz .LBB0_19
; %bb.18:
	ds_read_u16 v20, v11 offset:270
	ds_read_u16 v14, v11 offset:558
	ds_read_u16 v13, v11 offset:846
.LBB0_19:
	s_or_b64 exec, exec, s[2:3]
	v_mul_f16_sdwa v9, v9, v3 dst_sel:DWORD dst_unused:UNUSED_PAD src0_sel:DWORD src1_sel:WORD_1
	v_fma_f16 v3, v18, v3, -v9
	v_sub_f16_e32 v3, v17, v3
	v_fma_f16 v9, v17, 2.0, -v3
	v_fma_f16 v1, v19, 2.0, -v1
	v_sub_f16_e32 v1, v9, v1
	v_sub_f16_e32 v0, v3, v0
	v_fma_f16 v9, v9, 2.0, -v1
	v_fma_f16 v3, v3, 2.0, -v0
	;; [unrolled: 1-line block ×3, first 2 shown]
	v_sub_f16_e32 v2, v9, v2
	v_sub_f16_e32 v17, v3, v44
	;; [unrolled: 1-line block ×4, first 2 shown]
	v_fma_f16 v9, v9, 2.0, -v2
	v_sub_f16_e32 v18, v1, v21
	v_add_f16_e32 v19, v0, v47
	v_fma_f16 v44, v2, 2.0, -v29
	v_fma_f16 v2, v41, s5, v17
	v_fma_f16 v3, v3, 2.0, -v17
	v_sub_f16_e32 v19, v19, v46
	v_fma_f16 v40, v40, s4, v2
	v_add_f16_e32 v2, v18, v57
	v_fma_f16 v1, v1, 2.0, -v18
	v_fma_f16 v0, v0, 2.0, -v19
	;; [unrolled: 1-line block ×3, first 2 shown]
	v_fma_f16 v22, v50, s4, v3
	v_sub_f16_e32 v41, v2, v56
	v_fma_f16 v2, v45, s7, v19
	v_sub_f16_e32 v21, v9, v21
	;; [unrolled: 2-line block ×3, first 2 shown]
	v_fma_f16 v42, v52, s6, v0
	v_fma_f16 v2, v43, s6, v2
	v_fma_f16 v9, v9, 2.0, -v21
	v_fma_f16 v3, v3, 2.0, -v22
	v_sub_f16_e32 v23, v23, v53
	v_fma_f16 v42, v51, s4, v42
	v_fma_f16 v19, v19, 2.0, -v2
	v_fma_f16 v1, v1, 2.0, -v23
	;; [unrolled: 1-line block ×5, first 2 shown]
	s_waitcnt lgkmcnt(0)
	; wave barrier
	s_waitcnt lgkmcnt(0)
	ds_write_b16 v55, v9
	ds_write_b16 v55, v3 offset:6
	ds_write_b16 v55, v1 offset:12
	;; [unrolled: 1-line block ×15, first 2 shown]
	s_waitcnt lgkmcnt(0)
	; wave barrier
	s_waitcnt lgkmcnt(0)
	ds_read_u16 v43, v11 offset:342
	ds_read_u16 v44, v11 offset:396
	ds_read_u16 v23, v12
	ds_read_u16 v22, v11 offset:54
	ds_read_u16 v21, v11 offset:108
	;; [unrolled: 1-line block ×12, first 2 shown]
	s_and_saveexec_b64 s[2:3], s[0:1]
	s_cbranch_execz .LBB0_21
; %bb.20:
	ds_read_u16 v2, v11 offset:270
	ds_read_u16 v16, v11 offset:558
	;; [unrolled: 1-line block ×3, first 2 shown]
.LBB0_21:
	s_or_b64 exec, exec, s[2:3]
	v_mov_b32_e32 v9, 0
	v_lshlrev_b64 v[0:1], 2, v[8:9]
	v_mov_b32_e32 v29, s9
	v_add_co_u32_e64 v0, s[2:3], s8, v0
	v_addc_co_u32_e64 v1, s[2:3], v29, v1, s[2:3]
	v_add_u32_e32 v17, 27, v4
	v_subrev_u32_e32 v42, 21, v4
	v_cmp_gt_u32_e64 s[2:3], 21, v4
	v_cndmask_b32_e64 v42, v42, v17, s[2:3]
	v_lshlrev_b32_e32 v62, 1, v42
	v_mov_b32_e32 v63, v9
	v_lshlrev_b64 v[52:53], 2, v[62:63]
	v_add_u32_e32 v8, 12, v8
	v_add_co_u32_e64 v52, s[2:3], s8, v52
	v_lshlrev_b64 v[8:9], 2, v[8:9]
	v_addc_co_u32_e64 v53, s[2:3], v29, v53, s[2:3]
	v_add_co_u32_e64 v8, s[2:3], s8, v8
	v_addc_co_u32_e64 v9, s[2:3], v29, v9, s[2:3]
	v_add_u32_e32 v18, 0x51, v4
	s_movk_i32 s2, 0xab
	v_mul_lo_u16_sdwa v29, v18, s2 dst_sel:DWORD dst_unused:UNUSED_PAD src0_sel:BYTE_0 src1_sel:DWORD
	v_lshrrev_b16_e32 v69, 13, v29
	v_mul_lo_u16_e32 v29, 48, v69
	v_sub_u16_e32 v45, v18, v29
	v_mov_b32_e32 v42, 3
	global_load_dwordx2 v[48:49], v[0:1], off offset:180
	v_lshlrev_b32_sdwa v29, v42, v45 dst_sel:DWORD dst_unused:UNUSED_PAD src0_sel:DWORD src1_sel:BYTE_0
	global_load_dwordx2 v[52:53], v[52:53], off offset:180
	s_nop 0
	global_load_dwordx2 v[59:60], v[8:9], off offset:180
	global_load_dwordx2 v[63:64], v29, s[8:9] offset:180
	v_add_u32_e32 v8, 0x6c, v4
	v_mul_lo_u16_sdwa v9, v8, s2 dst_sel:DWORD dst_unused:UNUSED_PAD src0_sel:BYTE_0 src1_sel:DWORD
	v_lshrrev_b16_e32 v9, 13, v9
	v_mul_lo_u16_e32 v9, 48, v9
	v_sub_u16_e32 v9, v8, v9
	v_lshlrev_b32_sdwa v29, v42, v9 dst_sel:DWORD dst_unused:UNUSED_PAD src0_sel:DWORD src1_sel:BYTE_0
	global_load_dwordx2 v[65:66], v29, s[8:9] offset:180
	v_mul_lo_u16_sdwa v29, v10, s2 dst_sel:DWORD dst_unused:UNUSED_PAD src0_sel:BYTE_0 src1_sel:DWORD
	v_lshrrev_b16_e32 v29, 13, v29
	v_mul_lo_u16_e32 v29, 48, v29
	v_sub_u16_e32 v29, v10, v29
	v_lshlrev_b32_sdwa v42, v42, v29 dst_sel:DWORD dst_unused:UNUSED_PAD src0_sel:DWORD src1_sel:BYTE_0
	global_load_dwordx2 v[67:68], v42, s[8:9] offset:180
	v_mov_b32_e32 v42, 1
	v_lshlrev_b32_sdwa v71, v42, v9 dst_sel:DWORD dst_unused:UNUSED_PAD src0_sel:DWORD src1_sel:BYTE_0
	v_lshlrev_b32_sdwa v70, v42, v45 dst_sel:DWORD dst_unused:UNUSED_PAD src0_sel:DWORD src1_sel:BYTE_0
	s_mov_b32 s2, 0xbaee
	s_movk_i32 s3, 0x3aee
	s_waitcnt lgkmcnt(0)
	; wave barrier
	s_waitcnt lgkmcnt(0)
	s_movk_i32 s4, 0x120
	s_waitcnt vmcnt(5)
	v_mul_f16_sdwa v9, v40, v48 dst_sel:DWORD dst_unused:UNUSED_PAD src0_sel:DWORD src1_sel:WORD_1
	v_mul_f16_sdwa v45, v39, v48 dst_sel:DWORD dst_unused:UNUSED_PAD src0_sel:DWORD src1_sel:WORD_1
	v_fma_f16 v39, v39, v48, v9
	s_waitcnt vmcnt(4)
	v_mul_f16_sdwa v9, v43, v52 dst_sel:DWORD dst_unused:UNUSED_PAD src0_sel:DWORD src1_sel:WORD_1
	v_mul_f16_sdwa v50, v41, v49 dst_sel:DWORD dst_unused:UNUSED_PAD src0_sel:DWORD src1_sel:WORD_1
	v_fma_f16 v40, v40, v48, -v45
	v_mul_f16_sdwa v48, v35, v52 dst_sel:DWORD dst_unused:UNUSED_PAD src0_sel:DWORD src1_sel:WORD_1
	s_waitcnt vmcnt(3)
	v_mul_f16_sdwa v57, v44, v59 dst_sel:DWORD dst_unused:UNUSED_PAD src0_sel:DWORD src1_sel:WORD_1
	v_fma_f16 v45, v35, v52, v9
	v_mul_f16_sdwa v55, v38, v49 dst_sel:DWORD dst_unused:UNUSED_PAD src0_sel:DWORD src1_sel:WORD_1
	s_waitcnt vmcnt(1)
	v_mul_f16_sdwa v9, v58, v66 dst_sel:DWORD dst_unused:UNUSED_PAD src0_sel:DWORD src1_sel:WORD_1
	v_fma_f16 v38, v38, v49, v50
	v_fma_f16 v50, v43, v52, -v48
	v_fma_f16 v43, v36, v59, v57
	v_fma_f16 v57, v32, v66, v9
	v_mul_f16_sdwa v9, v32, v66 dst_sel:DWORD dst_unused:UNUSED_PAD src0_sel:DWORD src1_sel:WORD_1
	v_fma_f16 v41, v41, v49, -v55
	v_mul_f16_sdwa v49, v46, v53 dst_sel:DWORD dst_unused:UNUSED_PAD src0_sel:DWORD src1_sel:WORD_1
	v_mul_f16_sdwa v55, v33, v53 dst_sel:DWORD dst_unused:UNUSED_PAD src0_sel:DWORD src1_sel:WORD_1
	;; [unrolled: 1-line block ×3, first 2 shown]
	v_fma_f16 v58, v58, v66, -v9
	s_waitcnt vmcnt(0)
	v_mul_f16_sdwa v9, v16, v67 dst_sel:DWORD dst_unused:UNUSED_PAD src0_sel:DWORD src1_sel:WORD_1
	v_fma_f16 v48, v33, v53, v49
	v_fma_f16 v53, v46, v53, -v55
	v_fma_f16 v46, v44, v59, -v61
	v_fma_f16 v59, v14, v67, v9
	v_mul_f16_sdwa v9, v14, v67 dst_sel:DWORD dst_unused:UNUSED_PAD src0_sel:DWORD src1_sel:WORD_1
	v_mul_f16_sdwa v72, v47, v60 dst_sel:DWORD dst_unused:UNUSED_PAD src0_sel:DWORD src1_sel:WORD_1
	;; [unrolled: 1-line block ×3, first 2 shown]
	v_fma_f16 v16, v16, v67, -v9
	v_mul_f16_sdwa v9, v15, v68 dst_sel:DWORD dst_unused:UNUSED_PAD src0_sel:DWORD src1_sel:WORD_1
	v_fma_f16 v44, v34, v60, v72
	v_fma_f16 v49, v47, v60, -v73
	v_fma_f16 v60, v13, v68, v9
	v_mul_f16_sdwa v9, v13, v68 dst_sel:DWORD dst_unused:UNUSED_PAD src0_sel:DWORD src1_sel:WORD_1
	v_fma_f16 v61, v15, v68, -v9
	v_add_f16_e32 v9, v26, v39
	v_add_f16_e32 v15, v9, v38
	;; [unrolled: 1-line block ×3, first 2 shown]
	v_mul_f16_sdwa v77, v31, v64 dst_sel:DWORD dst_unused:UNUSED_PAD src0_sel:DWORD src1_sel:WORD_1
	v_mul_f16_sdwa v78, v56, v65 dst_sel:DWORD dst_unused:UNUSED_PAD src0_sel:DWORD src1_sel:WORD_1
	v_fma_f16 v9, v9, -0.5, v26
	v_sub_f16_e32 v13, v40, v41
	v_mul_f16_sdwa v76, v54, v64 dst_sel:DWORD dst_unused:UNUSED_PAD src0_sel:DWORD src1_sel:WORD_1
	v_mul_f16_sdwa v79, v30, v65 dst_sel:DWORD dst_unused:UNUSED_PAD src0_sel:DWORD src1_sel:WORD_1
	v_fma_f16 v55, v54, v64, -v77
	v_fma_f16 v54, v30, v65, v78
	v_fma_f16 v26, v13, s2, v9
	v_fma_f16 v30, v13, s3, v9
	v_add_f16_e32 v9, v25, v45
	v_fma_f16 v52, v31, v64, v76
	v_add_f16_e32 v31, v9, v48
	v_add_f16_e32 v9, v45, v48
	v_fma_f16 v9, v9, -0.5, v25
	v_sub_f16_e32 v13, v50, v53
	v_fma_f16 v25, v13, s2, v9
	v_fma_f16 v32, v13, s3, v9
	v_add_f16_e32 v9, v24, v43
	v_mul_f16_sdwa v74, v51, v63 dst_sel:DWORD dst_unused:UNUSED_PAD src0_sel:DWORD src1_sel:WORD_1
	v_add_f16_e32 v33, v9, v44
	v_add_f16_e32 v9, v43, v44
	v_fma_f16 v47, v37, v63, v74
	v_fma_f16 v9, v9, -0.5, v24
	v_sub_f16_e32 v13, v46, v49
	v_mul_f16_sdwa v75, v37, v63 dst_sel:DWORD dst_unused:UNUSED_PAD src0_sel:DWORD src1_sel:WORD_1
	v_fma_f16 v24, v13, s2, v9
	v_fma_f16 v34, v13, s3, v9
	v_add_f16_e32 v9, v27, v47
	v_fma_f16 v51, v51, v63, -v75
	v_add_f16_e32 v35, v9, v52
	v_add_f16_e32 v9, v47, v52
	v_fma_f16 v9, v9, -0.5, v27
	v_sub_f16_e32 v13, v51, v55
	v_fma_f16 v27, v13, s2, v9
	v_fma_f16 v36, v13, s3, v9
	v_add_f16_e32 v9, v28, v54
	v_fma_f16 v56, v56, v65, -v79
	v_add_f16_e32 v37, v9, v57
	v_add_f16_e32 v9, v54, v57
	v_fma_f16 v9, v9, -0.5, v28
	v_sub_f16_e32 v13, v56, v58
	v_fma_f16 v28, v13, s2, v9
	v_fma_f16 v65, v13, s3, v9
	v_add_f16_e32 v13, v59, v60
	v_add_f16_e32 v9, v20, v59
	v_fma_f16 v13, v13, -0.5, v20
	v_sub_f16_e32 v20, v16, v61
	v_fma_f16 v14, v20, s2, v13
	v_fma_f16 v13, v20, s3, v13
	ds_write_b16 v11, v15
	ds_write_b16 v11, v26 offset:96
	ds_write_b16 v11, v30 offset:192
	v_mov_b32_e32 v15, 0x120
	v_cmp_lt_u32_e64 s[2:3], 20, v4
	v_cndmask_b32_e64 v15, 0, v15, s[2:3]
	v_add_u32_e32 v15, 0, v15
	v_add3_u32 v62, v15, v62, v5
	v_mad_u32_u24 v15, v69, s4, 0
	v_add_f16_e32 v9, v9, v60
	v_add3_u32 v63, v15, v70, v5
	v_add3_u32 v64, 0, v71, v5
	ds_write_b16 v62, v31
	ds_write_b16 v62, v25 offset:96
	ds_write_b16 v62, v32 offset:192
	;; [unrolled: 1-line block ×5, first 2 shown]
	ds_write_b16 v63, v35
	ds_write_b16 v63, v27 offset:96
	ds_write_b16 v63, v36 offset:192
	;; [unrolled: 1-line block ×5, first 2 shown]
	s_and_saveexec_b64 s[2:3], s[0:1]
	s_cbranch_execz .LBB0_23
; %bb.22:
	v_lshlrev_b32_sdwa v15, v42, v29 dst_sel:DWORD dst_unused:UNUSED_PAD src0_sel:DWORD src1_sel:BYTE_0
	v_add3_u32 v15, 0, v15, v5
	ds_write_b16 v15, v9 offset:576
	ds_write_b16 v15, v14 offset:672
	;; [unrolled: 1-line block ×3, first 2 shown]
.LBB0_23:
	s_or_b64 exec, exec, s[2:3]
	s_waitcnt lgkmcnt(0)
	; wave barrier
	s_waitcnt lgkmcnt(0)
	ds_read_u16 v27, v11 offset:342
	ds_read_u16 v32, v11 offset:396
	ds_read_u16 v20, v12
	ds_read_u16 v25, v11 offset:54
	ds_read_u16 v30, v11 offset:108
	;; [unrolled: 1-line block ×12, first 2 shown]
	v_add_u32_e32 v65, 12, v11
	v_add_u32_e32 v66, 0x180, v11
	s_and_saveexec_b64 s[2:3], s[0:1]
	s_cbranch_execz .LBB0_25
; %bb.24:
	ds_read_u16 v9, v11 offset:270
	ds_read_u16 v14, v11 offset:558
	;; [unrolled: 1-line block ×3, first 2 shown]
.LBB0_25:
	s_or_b64 exec, exec, s[2:3]
	v_add_f16_e32 v15, v23, v40
	v_add_f16_e32 v67, v15, v41
	v_add_f16_e32 v15, v40, v41
	v_fma_f16 v15, v15, -0.5, v23
	v_sub_f16_e32 v23, v39, v38
	s_movk_i32 s2, 0x3aee
	s_mov_b32 s3, 0xbaee
	v_fma_f16 v38, v23, s2, v15
	v_fma_f16 v23, v23, s3, v15
	v_add_f16_e32 v15, v22, v50
	v_add_f16_e32 v39, v15, v53
	v_add_f16_e32 v15, v50, v53
	v_fma_f16 v15, v15, -0.5, v22
	v_sub_f16_e32 v22, v45, v48
	v_fma_f16 v40, v22, s2, v15
	v_fma_f16 v22, v22, s3, v15
	v_add_f16_e32 v15, v21, v46
	v_add_f16_e32 v41, v15, v49
	v_add_f16_e32 v15, v46, v49
	v_fma_f16 v15, v15, -0.5, v21
	v_sub_f16_e32 v21, v43, v44
	v_fma_f16 v43, v21, s2, v15
	v_fma_f16 v21, v21, s3, v15
	v_add_f16_e32 v15, v19, v51
	v_add_f16_e32 v44, v15, v55
	v_add_f16_e32 v15, v51, v55
	v_fma_f16 v15, v15, -0.5, v19
	v_sub_f16_e32 v19, v47, v52
	v_fma_f16 v45, v19, s2, v15
	v_fma_f16 v46, v19, s3, v15
	v_add_f16_e32 v15, v3, v56
	v_add_f16_e32 v47, v15, v58
	v_add_f16_e32 v15, v56, v58
	v_fma_f16 v3, v15, -0.5, v3
	v_sub_f16_e32 v15, v54, v57
	v_fma_f16 v48, v15, s2, v3
	v_fma_f16 v3, v15, s3, v3
	v_add_f16_e32 v15, v2, v16
	v_add_f16_e32 v16, v16, v61
	v_fma_f16 v2, v16, -0.5, v2
	v_sub_f16_e32 v16, v59, v60
	v_add_f16_e32 v15, v15, v61
	v_fma_f16 v19, v16, s2, v2
	v_fma_f16 v16, v16, s3, v2
	s_waitcnt lgkmcnt(0)
	; wave barrier
	s_waitcnt lgkmcnt(0)
	ds_write_b16 v11, v67
	ds_write_b16 v11, v38 offset:96
	ds_write_b16 v11, v23 offset:192
	ds_write_b16 v62, v39
	ds_write_b16 v62, v40 offset:96
	ds_write_b16 v62, v22 offset:192
	;; [unrolled: 1-line block ×5, first 2 shown]
	ds_write_b16 v63, v44
	ds_write_b16 v63, v45 offset:96
	ds_write_b16 v63, v46 offset:192
	;; [unrolled: 1-line block ×5, first 2 shown]
	s_and_saveexec_b64 s[2:3], s[0:1]
	s_cbranch_execz .LBB0_27
; %bb.26:
	v_mov_b32_e32 v2, 1
	v_lshlrev_b32_sdwa v2, v2, v29 dst_sel:DWORD dst_unused:UNUSED_PAD src0_sel:DWORD src1_sel:BYTE_0
	v_add3_u32 v2, 0, v2, v5
	ds_write_b16 v2, v15 offset:576
	ds_write_b16 v2, v19 offset:672
	;; [unrolled: 1-line block ×3, first 2 shown]
.LBB0_27:
	s_or_b64 exec, exec, s[2:3]
	s_waitcnt lgkmcnt(0)
	; wave barrier
	s_waitcnt lgkmcnt(0)
	ds_read_u16 v23, v11 offset:342
	ds_read_u16 v40, v11 offset:396
	ds_read_u16 v5, v12
	ds_read_u16 v21, v11 offset:54
	ds_read_u16 v38, v11 offset:108
	;; [unrolled: 1-line block ×12, first 2 shown]
	s_and_saveexec_b64 s[2:3], s[0:1]
	s_cbranch_execz .LBB0_29
; %bb.28:
	ds_read_u16 v15, v11 offset:270
	ds_read_u16 v19, v11 offset:558
	;; [unrolled: 1-line block ×3, first 2 shown]
.LBB0_29:
	s_or_b64 exec, exec, s[2:3]
	s_and_saveexec_b64 s[2:3], vcc
	s_cbranch_execz .LBB0_32
; %bb.30:
	v_lshlrev_b32_e32 v2, 1, v8
	v_mov_b32_e32 v3, 0
	v_lshlrev_b64 v[48:49], 2, v[2:3]
	v_lshlrev_b32_e32 v2, 1, v18
	v_mov_b32_e32 v11, s9
	v_add_co_u32_e32 v48, vcc, s8, v48
	v_lshlrev_b64 v[50:51], 2, v[2:3]
	v_mov_b32_e32 v2, 0x6c
	v_addc_co_u32_e32 v49, vcc, v11, v49, vcc
	v_lshl_add_u32 v2, v4, 1, v2
	v_add_co_u32_e32 v50, vcc, s8, v50
	v_lshlrev_b64 v[52:53], 2, v[2:3]
	v_addc_co_u32_e32 v51, vcc, v11, v51, vcc
	global_load_dwordx2 v[48:49], v[48:49], off offset:564
	v_add_co_u32_e32 v52, vcc, s8, v52
	global_load_dwordx2 v[50:51], v[50:51], off offset:564
	v_lshlrev_b32_e32 v2, 1, v17
	v_addc_co_u32_e32 v53, vcc, v11, v53, vcc
	v_lshlrev_b64 v[17:18], 2, v[2:3]
	global_load_dwordx2 v[52:53], v[52:53], off offset:564
	v_add_co_u32_e32 v17, vcc, s8, v17
	v_addc_co_u32_e32 v18, vcc, v11, v18, vcc
	global_load_dwordx2 v[17:18], v[17:18], off offset:564
	s_mov_b32 s2, 0xbaee
	global_load_dwordx2 v[0:1], v[0:1], off offset:564
	s_movk_i32 s3, 0x3aee
	v_add_co_u32_e32 v6, vcc, s12, v6
	s_mov_b32 s4, 0x38e38e39
	s_waitcnt vmcnt(4)
	v_mul_f16_sdwa v2, v42, v48 dst_sel:DWORD dst_unused:UNUSED_PAD src0_sel:DWORD src1_sel:WORD_1
	v_mul_f16_sdwa v11, v37, v49 dst_sel:DWORD dst_unused:UNUSED_PAD src0_sel:DWORD src1_sel:WORD_1
	s_waitcnt lgkmcnt(0)
	v_mul_f16_sdwa v54, v47, v48 dst_sel:DWORD dst_unused:UNUSED_PAD src0_sel:DWORD src1_sel:WORD_1
	v_mul_f16_sdwa v55, v46, v49 dst_sel:DWORD dst_unused:UNUSED_PAD src0_sel:DWORD src1_sel:WORD_1
	v_fma_f16 v2, v47, v48, -v2
	v_fma_f16 v11, v46, v49, -v11
	v_fma_f16 v42, v42, v48, v54
	v_fma_f16 v37, v37, v49, v55
	s_waitcnt vmcnt(3)
	v_mul_f16_sdwa v46, v35, v50 dst_sel:DWORD dst_unused:UNUSED_PAD src0_sel:DWORD src1_sel:WORD_1
	v_mul_f16_sdwa v47, v36, v51 dst_sel:DWORD dst_unused:UNUSED_PAD src0_sel:DWORD src1_sel:WORD_1
	v_mul_f16_sdwa v48, v44, v50 dst_sel:DWORD dst_unused:UNUSED_PAD src0_sel:DWORD src1_sel:WORD_1
	v_mul_f16_sdwa v49, v45, v51 dst_sel:DWORD dst_unused:UNUSED_PAD src0_sel:DWORD src1_sel:WORD_1
	v_add_f16_e32 v54, v2, v11
	v_sub_f16_e32 v57, v2, v11
	v_add_f16_e32 v2, v43, v2
	v_fma_f16 v44, v44, v50, -v46
	v_fma_f16 v45, v45, v51, -v47
	v_fma_f16 v35, v35, v50, v48
	v_fma_f16 v36, v36, v51, v49
	s_waitcnt vmcnt(2)
	v_mul_f16_sdwa v48, v40, v52 dst_sel:DWORD dst_unused:UNUSED_PAD src0_sel:DWORD src1_sel:WORD_1
	v_mul_f16_sdwa v49, v41, v53 dst_sel:DWORD dst_unused:UNUSED_PAD src0_sel:DWORD src1_sel:WORD_1
	;; [unrolled: 1-line block ×4, first 2 shown]
	v_add_f16_e32 v11, v2, v11
	v_add_f16_e32 v2, v44, v45
	v_sub_f16_e32 v51, v44, v45
	v_add_f16_e32 v44, v39, v44
	v_fma_f16 v32, v32, v52, v48
	v_fma_f16 v33, v33, v53, v49
	v_fma_f16 v2, v2, -0.5, v39
	v_add_f16_e32 v39, v44, v45
	v_add_f16_e32 v45, v32, v33
	v_sub_f16_e32 v44, v32, v33
	v_fma_f16 v45, v45, -0.5, v30
	v_add_f16_e32 v30, v30, v32
	s_waitcnt vmcnt(1)
	v_mul_f16_sdwa v32, v27, v17 dst_sel:DWORD dst_unused:UNUSED_PAD src0_sel:DWORD src1_sel:WORD_1
	v_fma_f16 v32, v23, v17, -v32
	v_mul_f16_sdwa v23, v23, v17 dst_sel:DWORD dst_unused:UNUSED_PAD src0_sel:DWORD src1_sel:WORD_1
	v_add_f16_e32 v30, v30, v33
	v_mul_f16_sdwa v33, v28, v18 dst_sel:DWORD dst_unused:UNUSED_PAD src0_sel:DWORD src1_sel:WORD_1
	v_fma_f16 v17, v27, v17, v23
	v_mul_f16_sdwa v23, v29, v18 dst_sel:DWORD dst_unused:UNUSED_PAD src0_sel:DWORD src1_sel:WORD_1
	v_fma_f16 v33, v29, v18, -v33
	v_fma_f16 v18, v28, v18, v23
	v_sub_f16_e32 v55, v42, v37
	v_add_f16_e32 v56, v42, v37
	v_add_f16_e32 v42, v34, v42
	v_sub_f16_e32 v23, v17, v18
	v_add_f16_e32 v28, v17, v18
	v_add_f16_e32 v17, v25, v17
	;; [unrolled: 1-line block ×3, first 2 shown]
	v_sub_f16_e32 v42, v35, v36
	v_add_f16_e32 v50, v35, v36
	v_add_f16_e32 v35, v31, v35
	v_fma_f16 v40, v40, v52, -v46
	v_fma_f16 v41, v41, v53, -v47
	v_add_f16_e32 v17, v17, v18
	s_waitcnt vmcnt(0)
	v_mul_f16_sdwa v18, v24, v0 dst_sel:DWORD dst_unused:UNUSED_PAD src0_sel:DWORD src1_sel:WORD_1
	v_add_f16_e32 v35, v35, v36
	v_add_f16_e32 v36, v40, v41
	v_fma_f16 v28, v28, -0.5, v25
	v_fma_f16 v18, v12, v0, -v18
	v_mul_f16_sdwa v25, v26, v1 dst_sel:DWORD dst_unused:UNUSED_PAD src0_sel:DWORD src1_sel:WORD_1
	v_mul_f16_sdwa v12, v12, v0 dst_sel:DWORD dst_unused:UNUSED_PAD src0_sel:DWORD src1_sel:WORD_1
	v_fma_f16 v36, v36, -0.5, v38
	v_add_f16_e32 v38, v38, v40
	v_sub_f16_e32 v29, v32, v33
	v_fma_f16 v25, v22, v1, -v25
	v_fma_f16 v0, v24, v0, v12
	v_mul_f16_sdwa v12, v22, v1 dst_sel:DWORD dst_unused:UNUSED_PAD src0_sel:DWORD src1_sel:WORD_1
	v_fma_f16 v31, v50, -0.5, v31
	v_sub_f16_e32 v50, v40, v41
	v_add_f16_e32 v38, v38, v41
	v_fma_f16 v41, v29, s3, v28
	v_fma_f16 v28, v29, s2, v28
	v_add_f16_e32 v29, v18, v25
	v_fma_f16 v1, v26, v1, v12
	v_fma_f16 v29, v29, -0.5, v5
	v_sub_f16_e32 v12, v0, v1
	v_add_f16_e32 v24, v0, v1
	v_add_f16_e32 v5, v5, v18
	v_add_f16_e32 v0, v20, v0
	v_fma_f16 v24, v24, -0.5, v20
	v_sub_f16_e32 v26, v18, v25
	v_add_f16_e32 v18, v5, v25
	v_add_f16_e32 v20, v0, v1
	v_mov_b32_e32 v5, v3
	v_mov_b32_e32 v0, s13
	v_addc_co_u32_e32 v7, vcc, v0, v7, vcc
	v_lshlrev_b64 v[0:1], 2, v[4:5]
	v_add_f16_e32 v40, v32, v33
	v_add_co_u32_e32 v0, vcc, v6, v0
	v_fma_f16 v40, v40, -0.5, v21
	v_add_f16_e32 v21, v21, v32
	v_fma_f16 v22, v12, s2, v29
	v_fma_f16 v32, v26, s3, v24
	;; [unrolled: 1-line block ×4, first 2 shown]
	v_addc_co_u32_e32 v1, vcc, v7, v1, vcc
	v_pack_b32_f16 v5, v20, v18
	global_store_dword v[0:1], v5, off
	v_pack_b32_f16 v5, v24, v12
	v_add_f16_e32 v21, v21, v33
	global_store_dword v[0:1], v5, off offset:576
	v_pack_b32_f16 v5, v32, v22
	v_fma_f16 v27, v23, s2, v40
	v_fma_f16 v23, v23, s3, v40
	global_store_dword v[0:1], v5, off offset:1152
	v_pack_b32_f16 v5, v17, v21
	global_store_dword v[0:1], v5, off offset:108
	v_pack_b32_f16 v5, v28, v23
	;; [unrolled: 2-line block ×3, first 2 shown]
	v_fma_f16 v48, v42, s2, v2
	v_fma_f16 v2, v42, s3, v2
	;; [unrolled: 1-line block ×5, first 2 shown]
	global_store_dword v[0:1], v5, off offset:1260
	v_pack_b32_f16 v5, v30, v38
	v_fma_f16 v49, v51, s3, v31
	v_fma_f16 v31, v51, s2, v31
	;; [unrolled: 1-line block ×3, first 2 shown]
	global_store_dword v[0:1], v5, off offset:216
	v_pack_b32_f16 v5, v44, v36
	global_store_dword v[0:1], v5, off offset:792
	v_pack_b32_f16 v5, v51, v42
	global_store_dword v[0:1], v5, off offset:1368
	v_pack_b32_f16 v5, v35, v39
	global_store_dword v[0:1], v5, off offset:324
	v_mul_hi_u32 v5, v8, s4
	v_pack_b32_f16 v2, v31, v2
	global_store_dword v[0:1], v2, off offset:900
	v_pack_b32_f16 v2, v49, v48
	global_store_dword v[0:1], v2, off offset:1476
	v_lshrrev_b32_e32 v2, 5, v5
	v_mul_u32_u24_e32 v2, 0x120, v2
	v_lshlrev_b64 v[5:6], 2, v[2:3]
	v_fma_f16 v43, v54, -0.5, v43
	v_fma_f16 v34, v56, -0.5, v34
	v_add_co_u32_e32 v5, vcc, v0, v5
	v_fma_f16 v46, v55, s2, v43
	v_fma_f16 v47, v57, s3, v34
	;; [unrolled: 1-line block ×4, first 2 shown]
	v_addc_co_u32_e32 v6, vcc, v1, v6, vcc
	v_pack_b32_f16 v2, v37, v11
	global_store_dword v[5:6], v2, off offset:432
	v_pack_b32_f16 v2, v34, v43
	global_store_dword v[5:6], v2, off offset:1008
	;; [unrolled: 2-line block ×3, first 2 shown]
	s_and_b64 exec, exec, s[0:1]
	s_cbranch_execz .LBB0_32
; %bb.31:
	v_add_u32_e32 v2, -9, v4
	v_cndmask_b32_e64 v2, v2, v10, s[0:1]
	v_lshlrev_b32_e32 v2, 1, v2
	v_lshlrev_b64 v[2:3], 2, v[2:3]
	v_mov_b32_e32 v4, s9
	v_add_co_u32_e32 v2, vcc, s8, v2
	v_addc_co_u32_e32 v3, vcc, v4, v3, vcc
	global_load_dwordx2 v[2:3], v[2:3], off offset:564
	s_waitcnt vmcnt(0)
	v_mul_f16_sdwa v4, v19, v2 dst_sel:DWORD dst_unused:UNUSED_PAD src0_sel:DWORD src1_sel:WORD_1
	v_mul_f16_sdwa v5, v14, v2 dst_sel:DWORD dst_unused:UNUSED_PAD src0_sel:DWORD src1_sel:WORD_1
	;; [unrolled: 1-line block ×4, first 2 shown]
	v_fma_f16 v4, v14, v2, v4
	v_fma_f16 v2, v19, v2, -v5
	v_fma_f16 v5, v13, v3, v6
	v_fma_f16 v3, v16, v3, -v7
	v_add_f16_e32 v6, v9, v4
	v_add_f16_e32 v7, v4, v5
	v_sub_f16_e32 v8, v2, v3
	v_add_f16_e32 v10, v15, v2
	v_add_f16_e32 v2, v2, v3
	v_sub_f16_e32 v4, v4, v5
	v_add_f16_e32 v5, v6, v5
	v_fma_f16 v6, v7, -0.5, v9
	v_add_f16_e32 v3, v10, v3
	v_fma_f16 v2, v2, -0.5, v15
	v_fma_f16 v7, v8, s2, v6
	v_fma_f16 v6, v8, s3, v6
	;; [unrolled: 1-line block ×3, first 2 shown]
	v_pack_b32_f16 v3, v5, v3
	v_fma_f16 v2, v4, s2, v2
	global_store_dword v[0:1], v3, off offset:540
	v_pack_b32_f16 v3, v7, v8
	v_pack_b32_f16 v2, v6, v2
	global_store_dword v[0:1], v3, off offset:1116
	global_store_dword v[0:1], v2, off offset:1692
.LBB0_32:
	s_endpgm
	.section	.rodata,"a",@progbits
	.p2align	6, 0x0
	.amdhsa_kernel fft_rtc_back_len432_factors_3_16_3_3_wgs_54_tpt_27_halfLds_half_ip_CI_unitstride_sbrr_dirReg
		.amdhsa_group_segment_fixed_size 0
		.amdhsa_private_segment_fixed_size 0
		.amdhsa_kernarg_size 88
		.amdhsa_user_sgpr_count 6
		.amdhsa_user_sgpr_private_segment_buffer 1
		.amdhsa_user_sgpr_dispatch_ptr 0
		.amdhsa_user_sgpr_queue_ptr 0
		.amdhsa_user_sgpr_kernarg_segment_ptr 1
		.amdhsa_user_sgpr_dispatch_id 0
		.amdhsa_user_sgpr_flat_scratch_init 0
		.amdhsa_user_sgpr_private_segment_size 0
		.amdhsa_uses_dynamic_stack 0
		.amdhsa_system_sgpr_private_segment_wavefront_offset 0
		.amdhsa_system_sgpr_workgroup_id_x 1
		.amdhsa_system_sgpr_workgroup_id_y 0
		.amdhsa_system_sgpr_workgroup_id_z 0
		.amdhsa_system_sgpr_workgroup_info 0
		.amdhsa_system_vgpr_workitem_id 0
		.amdhsa_next_free_vgpr 80
		.amdhsa_next_free_sgpr 22
		.amdhsa_reserve_vcc 1
		.amdhsa_reserve_flat_scratch 0
		.amdhsa_float_round_mode_32 0
		.amdhsa_float_round_mode_16_64 0
		.amdhsa_float_denorm_mode_32 3
		.amdhsa_float_denorm_mode_16_64 3
		.amdhsa_dx10_clamp 1
		.amdhsa_ieee_mode 1
		.amdhsa_fp16_overflow 0
		.amdhsa_exception_fp_ieee_invalid_op 0
		.amdhsa_exception_fp_denorm_src 0
		.amdhsa_exception_fp_ieee_div_zero 0
		.amdhsa_exception_fp_ieee_overflow 0
		.amdhsa_exception_fp_ieee_underflow 0
		.amdhsa_exception_fp_ieee_inexact 0
		.amdhsa_exception_int_div_zero 0
	.end_amdhsa_kernel
	.text
.Lfunc_end0:
	.size	fft_rtc_back_len432_factors_3_16_3_3_wgs_54_tpt_27_halfLds_half_ip_CI_unitstride_sbrr_dirReg, .Lfunc_end0-fft_rtc_back_len432_factors_3_16_3_3_wgs_54_tpt_27_halfLds_half_ip_CI_unitstride_sbrr_dirReg
                                        ; -- End function
	.section	.AMDGPU.csdata,"",@progbits
; Kernel info:
; codeLenInByte = 8404
; NumSgprs: 26
; NumVgprs: 80
; ScratchSize: 0
; MemoryBound: 0
; FloatMode: 240
; IeeeMode: 1
; LDSByteSize: 0 bytes/workgroup (compile time only)
; SGPRBlocks: 3
; VGPRBlocks: 19
; NumSGPRsForWavesPerEU: 26
; NumVGPRsForWavesPerEU: 80
; Occupancy: 3
; WaveLimiterHint : 1
; COMPUTE_PGM_RSRC2:SCRATCH_EN: 0
; COMPUTE_PGM_RSRC2:USER_SGPR: 6
; COMPUTE_PGM_RSRC2:TRAP_HANDLER: 0
; COMPUTE_PGM_RSRC2:TGID_X_EN: 1
; COMPUTE_PGM_RSRC2:TGID_Y_EN: 0
; COMPUTE_PGM_RSRC2:TGID_Z_EN: 0
; COMPUTE_PGM_RSRC2:TIDIG_COMP_CNT: 0
	.type	__hip_cuid_223b5510098816f3,@object ; @__hip_cuid_223b5510098816f3
	.section	.bss,"aw",@nobits
	.globl	__hip_cuid_223b5510098816f3
__hip_cuid_223b5510098816f3:
	.byte	0                               ; 0x0
	.size	__hip_cuid_223b5510098816f3, 1

	.ident	"AMD clang version 19.0.0git (https://github.com/RadeonOpenCompute/llvm-project roc-6.4.0 25133 c7fe45cf4b819c5991fe208aaa96edf142730f1d)"
	.section	".note.GNU-stack","",@progbits
	.addrsig
	.addrsig_sym __hip_cuid_223b5510098816f3
	.amdgpu_metadata
---
amdhsa.kernels:
  - .args:
      - .actual_access:  read_only
        .address_space:  global
        .offset:         0
        .size:           8
        .value_kind:     global_buffer
      - .offset:         8
        .size:           8
        .value_kind:     by_value
      - .actual_access:  read_only
        .address_space:  global
        .offset:         16
        .size:           8
        .value_kind:     global_buffer
      - .actual_access:  read_only
        .address_space:  global
        .offset:         24
        .size:           8
        .value_kind:     global_buffer
      - .offset:         32
        .size:           8
        .value_kind:     by_value
      - .actual_access:  read_only
        .address_space:  global
        .offset:         40
        .size:           8
        .value_kind:     global_buffer
      - .actual_access:  read_only
        .address_space:  global
        .offset:         48
        .size:           8
        .value_kind:     global_buffer
      - .offset:         56
        .size:           4
        .value_kind:     by_value
      - .actual_access:  read_only
        .address_space:  global
        .offset:         64
        .size:           8
        .value_kind:     global_buffer
      - .actual_access:  read_only
        .address_space:  global
        .offset:         72
        .size:           8
        .value_kind:     global_buffer
      - .address_space:  global
        .offset:         80
        .size:           8
        .value_kind:     global_buffer
    .group_segment_fixed_size: 0
    .kernarg_segment_align: 8
    .kernarg_segment_size: 88
    .language:       OpenCL C
    .language_version:
      - 2
      - 0
    .max_flat_workgroup_size: 54
    .name:           fft_rtc_back_len432_factors_3_16_3_3_wgs_54_tpt_27_halfLds_half_ip_CI_unitstride_sbrr_dirReg
    .private_segment_fixed_size: 0
    .sgpr_count:     26
    .sgpr_spill_count: 0
    .symbol:         fft_rtc_back_len432_factors_3_16_3_3_wgs_54_tpt_27_halfLds_half_ip_CI_unitstride_sbrr_dirReg.kd
    .uniform_work_group_size: 1
    .uses_dynamic_stack: false
    .vgpr_count:     80
    .vgpr_spill_count: 0
    .wavefront_size: 64
amdhsa.target:   amdgcn-amd-amdhsa--gfx906
amdhsa.version:
  - 1
  - 2
...

	.end_amdgpu_metadata
